;; amdgpu-corpus repo=ROCm/rocFFT kind=compiled arch=gfx906 opt=O3
	.text
	.amdgcn_target "amdgcn-amd-amdhsa--gfx906"
	.amdhsa_code_object_version 6
	.protected	fft_rtc_back_len1100_factors_2_2_11_5_5_wgs_110_tpt_110_half_ip_CI_unitstride_sbrr_R2C_dirReg ; -- Begin function fft_rtc_back_len1100_factors_2_2_11_5_5_wgs_110_tpt_110_half_ip_CI_unitstride_sbrr_R2C_dirReg
	.globl	fft_rtc_back_len1100_factors_2_2_11_5_5_wgs_110_tpt_110_half_ip_CI_unitstride_sbrr_R2C_dirReg
	.p2align	8
	.type	fft_rtc_back_len1100_factors_2_2_11_5_5_wgs_110_tpt_110_half_ip_CI_unitstride_sbrr_R2C_dirReg,@function
fft_rtc_back_len1100_factors_2_2_11_5_5_wgs_110_tpt_110_half_ip_CI_unitstride_sbrr_R2C_dirReg: ; @fft_rtc_back_len1100_factors_2_2_11_5_5_wgs_110_tpt_110_half_ip_CI_unitstride_sbrr_R2C_dirReg
; %bb.0:
	s_load_dwordx2 s[2:3], s[4:5], 0x50
	s_load_dwordx4 s[8:11], s[4:5], 0x0
	s_load_dwordx2 s[12:13], s[4:5], 0x18
	v_mul_u32_u24_e32 v1, 0x254, v0
	v_add_u32_sdwa v5, s6, v1 dst_sel:DWORD dst_unused:UNUSED_PAD src0_sel:DWORD src1_sel:WORD_1
	v_mov_b32_e32 v3, 0
	s_waitcnt lgkmcnt(0)
	v_cmp_lt_u64_e64 s[0:1], s[10:11], 2
	v_mov_b32_e32 v1, 0
	v_mov_b32_e32 v6, v3
	s_and_b64 vcc, exec, s[0:1]
	v_mov_b32_e32 v2, 0
	s_cbranch_vccnz .LBB0_8
; %bb.1:
	s_load_dwordx2 s[0:1], s[4:5], 0x10
	s_add_u32 s6, s12, 8
	s_addc_u32 s7, s13, 0
	v_mov_b32_e32 v1, 0
	v_mov_b32_e32 v2, 0
	s_waitcnt lgkmcnt(0)
	s_add_u32 s14, s0, 8
	s_addc_u32 s15, s1, 0
	s_mov_b64 s[16:17], 1
.LBB0_2:                                ; =>This Inner Loop Header: Depth=1
	s_load_dwordx2 s[18:19], s[14:15], 0x0
                                        ; implicit-def: $vgpr7_vgpr8
	s_waitcnt lgkmcnt(0)
	v_or_b32_e32 v4, s19, v6
	v_cmp_ne_u64_e32 vcc, 0, v[3:4]
	s_and_saveexec_b64 s[0:1], vcc
	s_xor_b64 s[20:21], exec, s[0:1]
	s_cbranch_execz .LBB0_4
; %bb.3:                                ;   in Loop: Header=BB0_2 Depth=1
	v_cvt_f32_u32_e32 v4, s18
	v_cvt_f32_u32_e32 v7, s19
	s_sub_u32 s0, 0, s18
	s_subb_u32 s1, 0, s19
	v_mac_f32_e32 v4, 0x4f800000, v7
	v_rcp_f32_e32 v4, v4
	v_mul_f32_e32 v4, 0x5f7ffffc, v4
	v_mul_f32_e32 v7, 0x2f800000, v4
	v_trunc_f32_e32 v7, v7
	v_mac_f32_e32 v4, 0xcf800000, v7
	v_cvt_u32_f32_e32 v7, v7
	v_cvt_u32_f32_e32 v4, v4
	v_mul_lo_u32 v8, s0, v7
	v_mul_hi_u32 v9, s0, v4
	v_mul_lo_u32 v11, s1, v4
	v_mul_lo_u32 v10, s0, v4
	v_add_u32_e32 v8, v9, v8
	v_add_u32_e32 v8, v8, v11
	v_mul_hi_u32 v9, v4, v10
	v_mul_lo_u32 v11, v4, v8
	v_mul_hi_u32 v13, v4, v8
	v_mul_hi_u32 v12, v7, v10
	v_mul_lo_u32 v10, v7, v10
	v_mul_hi_u32 v14, v7, v8
	v_add_co_u32_e32 v9, vcc, v9, v11
	v_addc_co_u32_e32 v11, vcc, 0, v13, vcc
	v_mul_lo_u32 v8, v7, v8
	v_add_co_u32_e32 v9, vcc, v9, v10
	v_addc_co_u32_e32 v9, vcc, v11, v12, vcc
	v_addc_co_u32_e32 v10, vcc, 0, v14, vcc
	v_add_co_u32_e32 v8, vcc, v9, v8
	v_addc_co_u32_e32 v9, vcc, 0, v10, vcc
	v_add_co_u32_e32 v4, vcc, v4, v8
	v_addc_co_u32_e32 v7, vcc, v7, v9, vcc
	v_mul_lo_u32 v8, s0, v7
	v_mul_hi_u32 v9, s0, v4
	v_mul_lo_u32 v10, s1, v4
	v_mul_lo_u32 v11, s0, v4
	v_add_u32_e32 v8, v9, v8
	v_add_u32_e32 v8, v8, v10
	v_mul_lo_u32 v12, v4, v8
	v_mul_hi_u32 v13, v4, v11
	v_mul_hi_u32 v14, v4, v8
	;; [unrolled: 1-line block ×3, first 2 shown]
	v_mul_lo_u32 v11, v7, v11
	v_mul_hi_u32 v9, v7, v8
	v_add_co_u32_e32 v12, vcc, v13, v12
	v_addc_co_u32_e32 v13, vcc, 0, v14, vcc
	v_mul_lo_u32 v8, v7, v8
	v_add_co_u32_e32 v11, vcc, v12, v11
	v_addc_co_u32_e32 v10, vcc, v13, v10, vcc
	v_addc_co_u32_e32 v9, vcc, 0, v9, vcc
	v_add_co_u32_e32 v8, vcc, v10, v8
	v_addc_co_u32_e32 v9, vcc, 0, v9, vcc
	v_add_co_u32_e32 v4, vcc, v4, v8
	v_addc_co_u32_e32 v9, vcc, v7, v9, vcc
	v_mad_u64_u32 v[7:8], s[0:1], v5, v9, 0
	v_mul_hi_u32 v10, v5, v4
	v_add_co_u32_e32 v11, vcc, v10, v7
	v_addc_co_u32_e32 v12, vcc, 0, v8, vcc
	v_mad_u64_u32 v[7:8], s[0:1], v6, v4, 0
	v_mad_u64_u32 v[9:10], s[0:1], v6, v9, 0
	v_add_co_u32_e32 v4, vcc, v11, v7
	v_addc_co_u32_e32 v4, vcc, v12, v8, vcc
	v_addc_co_u32_e32 v7, vcc, 0, v10, vcc
	v_add_co_u32_e32 v4, vcc, v4, v9
	v_addc_co_u32_e32 v9, vcc, 0, v7, vcc
	v_mul_lo_u32 v10, s19, v4
	v_mul_lo_u32 v11, s18, v9
	v_mad_u64_u32 v[7:8], s[0:1], s18, v4, 0
	v_add3_u32 v8, v8, v11, v10
	v_sub_u32_e32 v10, v6, v8
	v_mov_b32_e32 v11, s19
	v_sub_co_u32_e32 v7, vcc, v5, v7
	v_subb_co_u32_e64 v10, s[0:1], v10, v11, vcc
	v_subrev_co_u32_e64 v11, s[0:1], s18, v7
	v_subbrev_co_u32_e64 v10, s[0:1], 0, v10, s[0:1]
	v_cmp_le_u32_e64 s[0:1], s19, v10
	v_cndmask_b32_e64 v12, 0, -1, s[0:1]
	v_cmp_le_u32_e64 s[0:1], s18, v11
	v_cndmask_b32_e64 v11, 0, -1, s[0:1]
	v_cmp_eq_u32_e64 s[0:1], s19, v10
	v_cndmask_b32_e64 v10, v12, v11, s[0:1]
	v_add_co_u32_e64 v11, s[0:1], 2, v4
	v_addc_co_u32_e64 v12, s[0:1], 0, v9, s[0:1]
	v_add_co_u32_e64 v13, s[0:1], 1, v4
	v_addc_co_u32_e64 v14, s[0:1], 0, v9, s[0:1]
	v_subb_co_u32_e32 v8, vcc, v6, v8, vcc
	v_cmp_ne_u32_e64 s[0:1], 0, v10
	v_cmp_le_u32_e32 vcc, s19, v8
	v_cndmask_b32_e64 v10, v14, v12, s[0:1]
	v_cndmask_b32_e64 v12, 0, -1, vcc
	v_cmp_le_u32_e32 vcc, s18, v7
	v_cndmask_b32_e64 v7, 0, -1, vcc
	v_cmp_eq_u32_e32 vcc, s19, v8
	v_cndmask_b32_e32 v7, v12, v7, vcc
	v_cmp_ne_u32_e32 vcc, 0, v7
	v_cndmask_b32_e64 v7, v13, v11, s[0:1]
	v_cndmask_b32_e32 v8, v9, v10, vcc
	v_cndmask_b32_e32 v7, v4, v7, vcc
.LBB0_4:                                ;   in Loop: Header=BB0_2 Depth=1
	s_andn2_saveexec_b64 s[0:1], s[20:21]
	s_cbranch_execz .LBB0_6
; %bb.5:                                ;   in Loop: Header=BB0_2 Depth=1
	v_cvt_f32_u32_e32 v4, s18
	s_sub_i32 s20, 0, s18
	v_rcp_iflag_f32_e32 v4, v4
	v_mul_f32_e32 v4, 0x4f7ffffe, v4
	v_cvt_u32_f32_e32 v4, v4
	v_mul_lo_u32 v7, s20, v4
	v_mul_hi_u32 v7, v4, v7
	v_add_u32_e32 v4, v4, v7
	v_mul_hi_u32 v4, v5, v4
	v_mul_lo_u32 v7, v4, s18
	v_add_u32_e32 v8, 1, v4
	v_sub_u32_e32 v7, v5, v7
	v_subrev_u32_e32 v9, s18, v7
	v_cmp_le_u32_e32 vcc, s18, v7
	v_cndmask_b32_e32 v7, v7, v9, vcc
	v_cndmask_b32_e32 v4, v4, v8, vcc
	v_add_u32_e32 v8, 1, v4
	v_cmp_le_u32_e32 vcc, s18, v7
	v_cndmask_b32_e32 v7, v4, v8, vcc
	v_mov_b32_e32 v8, v3
.LBB0_6:                                ;   in Loop: Header=BB0_2 Depth=1
	s_or_b64 exec, exec, s[0:1]
	v_mul_lo_u32 v4, v8, s18
	v_mul_lo_u32 v11, v7, s19
	v_mad_u64_u32 v[9:10], s[0:1], v7, s18, 0
	s_load_dwordx2 s[0:1], s[6:7], 0x0
	s_add_u32 s16, s16, 1
	v_add3_u32 v4, v10, v11, v4
	v_sub_co_u32_e32 v5, vcc, v5, v9
	v_subb_co_u32_e32 v4, vcc, v6, v4, vcc
	s_waitcnt lgkmcnt(0)
	v_mul_lo_u32 v4, s0, v4
	v_mul_lo_u32 v6, s1, v5
	v_mad_u64_u32 v[1:2], s[0:1], s0, v5, v[1:2]
	s_addc_u32 s17, s17, 0
	s_add_u32 s6, s6, 8
	v_add3_u32 v2, v6, v2, v4
	v_mov_b32_e32 v4, s10
	v_mov_b32_e32 v5, s11
	s_addc_u32 s7, s7, 0
	v_cmp_ge_u64_e32 vcc, s[16:17], v[4:5]
	s_add_u32 s14, s14, 8
	s_addc_u32 s15, s15, 0
	s_cbranch_vccnz .LBB0_9
; %bb.7:                                ;   in Loop: Header=BB0_2 Depth=1
	v_mov_b32_e32 v5, v7
	v_mov_b32_e32 v6, v8
	s_branch .LBB0_2
.LBB0_8:
	v_mov_b32_e32 v8, v6
	v_mov_b32_e32 v7, v5
.LBB0_9:
	s_lshl_b64 s[0:1], s[10:11], 3
	s_add_u32 s0, s12, s0
	s_addc_u32 s1, s13, s1
	s_load_dwordx2 s[6:7], s[0:1], 0x0
	s_load_dwordx2 s[10:11], s[4:5], 0x20
                                        ; implicit-def: $vgpr6
	s_waitcnt lgkmcnt(0)
	v_mad_u64_u32 v[1:2], s[0:1], s6, v7, v[1:2]
	s_mov_b32 s0, 0x253c826
	v_mul_lo_u32 v3, s6, v8
	v_mul_lo_u32 v4, s7, v7
	v_mul_hi_u32 v5, v0, s0
	v_cmp_gt_u64_e32 vcc, s[10:11], v[7:8]
	v_cmp_le_u64_e64 s[0:1], s[10:11], v[7:8]
	v_add3_u32 v2, v4, v2, v3
	v_mul_u32_u24_e32 v3, 0x6e, v5
	v_sub_u32_e32 v0, v0, v3
                                        ; implicit-def: $vgpr4
                                        ; implicit-def: $vgpr8
                                        ; implicit-def: $vgpr7
	s_and_saveexec_b64 s[4:5], s[0:1]
	s_xor_b64 s[0:1], exec, s[4:5]
; %bb.10:
	v_add_u32_e32 v4, 0x6e, v0
	v_add_u32_e32 v8, 0xdc, v0
	;; [unrolled: 1-line block ×4, first 2 shown]
; %bb.11:
	s_or_saveexec_b64 s[4:5], s[0:1]
	v_lshlrev_b64 v[2:3], 2, v[1:2]
	s_xor_b64 exec, exec, s[4:5]
	s_cbranch_execz .LBB0_13
; %bb.12:
	v_mov_b32_e32 v1, 0
	v_mov_b32_e32 v4, s3
	v_add_co_u32_e64 v6, s[0:1], s2, v2
	v_addc_co_u32_e64 v7, s[0:1], v4, v3, s[0:1]
	v_lshlrev_b64 v[4:5], 2, v[0:1]
	v_add_u32_e32 v8, 0xdc, v0
	v_add_co_u32_e64 v4, s[0:1], v6, v4
	v_addc_co_u32_e64 v5, s[0:1], v7, v5, s[0:1]
	global_load_dword v1, v[4:5], off
	global_load_dword v9, v[4:5], off offset:440
	global_load_dword v10, v[4:5], off offset:880
	;; [unrolled: 1-line block ×9, first 2 shown]
	v_lshl_add_u32 v5, v0, 2, 0
	v_add_u32_e32 v4, 0x6e, v0
	v_add_u32_e32 v7, 0x14a, v0
	;; [unrolled: 1-line block ×7, first 2 shown]
	s_waitcnt vmcnt(8)
	ds_write2_b32 v5, v1, v9 offset1:110
	s_waitcnt vmcnt(6)
	ds_write2_b32 v18, v10, v11 offset0:92 offset1:202
	s_waitcnt vmcnt(4)
	ds_write2_b32 v19, v12, v13 offset0:56 offset1:166
	;; [unrolled: 2-line block ×4, first 2 shown]
.LBB0_13:
	s_or_b64 exec, exec, s[4:5]
	v_lshlrev_b32_e32 v9, 2, v0
	v_add_u32_e32 v22, 0, v9
	v_add_u32_e32 v5, 0x600, v22
	;; [unrolled: 1-line block ×3, first 2 shown]
	s_waitcnt lgkmcnt(0)
	s_barrier
	ds_read2_b32 v[11:12], v5 offset0:56 offset1:166
	ds_read2_b32 v[13:14], v25 offset0:112 offset1:222
	ds_read2_b32 v[15:16], v22 offset1:110
	v_add_u32_e32 v26, 0x200, v22
	v_add_u32_e32 v5, 0xa00, v22
	ds_read2_b32 v[17:18], v26 offset0:92 offset1:202
	ds_read2_b32 v[19:20], v5 offset0:20 offset1:130
	s_waitcnt lgkmcnt(2)
	v_pk_add_f16 v5, v15, v12 neg_lo:[0,1] neg_hi:[0,1]
	v_add_u32_e32 v1, v22, v9
	v_pk_fma_f16 v10, v15, 2.0, v5 op_sel_hi:[1,0,1] neg_lo:[0,0,1] neg_hi:[0,0,1]
	s_waitcnt lgkmcnt(0)
	s_barrier
	ds_write2_b32 v1, v10, v5 offset1:1
	v_pk_add_f16 v5, v11, v14 neg_lo:[0,1] neg_hi:[0,1]
	v_pk_add_f16 v14, v17, v20 neg_lo:[0,1] neg_hi:[0,1]
	v_pk_fma_f16 v15, v17, 2.0, v14 op_sel_hi:[1,0,1] neg_lo:[0,0,1] neg_hi:[0,0,1]
	v_pk_add_f16 v17, v16, v19 neg_lo:[0,1] neg_hi:[0,1]
	v_lshl_add_u32 v1, v4, 3, 0
	v_pk_add_f16 v12, v18, v13 neg_lo:[0,1] neg_hi:[0,1]
	v_pk_fma_f16 v16, v16, 2.0, v17 op_sel_hi:[1,0,1] neg_lo:[0,0,1] neg_hi:[0,0,1]
	v_lshl_add_u32 v10, v8, 3, 0
	v_pk_fma_f16 v11, v11, 2.0, v5 op_sel_hi:[1,0,1] neg_lo:[0,0,1] neg_hi:[0,0,1]
	v_pk_fma_f16 v13, v18, 2.0, v12 op_sel_hi:[1,0,1] neg_lo:[0,0,1] neg_hi:[0,0,1]
	v_lshl_add_u32 v23, v7, 3, 0
	v_lshl_add_u32 v24, v6, 3, 0
	ds_write2_b32 v1, v16, v17 offset1:1
	ds_write2_b32 v10, v15, v14 offset1:1
	;; [unrolled: 1-line block ×4, first 2 shown]
	v_and_b32_e32 v12, 1, v0
	v_lshlrev_b32_e32 v5, 2, v12
	s_waitcnt lgkmcnt(0)
	s_barrier
	global_load_dword v16, v5, s[8:9]
	v_lshlrev_b32_e32 v5, 2, v7
	v_lshlrev_b32_e32 v40, 2, v6
	s_movk_i32 s4, 0x3fc
	v_lshlrev_b32_e32 v17, 1, v7
	v_lshlrev_b32_e32 v11, 2, v4
	;; [unrolled: 1-line block ×3, first 2 shown]
	s_movk_i32 s0, 0xfc
	s_movk_i32 s1, 0x1fc
	;; [unrolled: 1-line block ×3, first 2 shown]
	v_lshlrev_b32_e32 v13, 1, v0
	v_lshlrev_b32_e32 v14, 1, v4
	;; [unrolled: 1-line block ×4, first 2 shown]
	v_sub_u32_e32 v20, v23, v5
	v_sub_u32_e32 v21, v24, v40
	v_and_or_b32 v31, v17, s4, v12
	v_sub_u32_e32 v17, v1, v11
	v_sub_u32_e32 v19, v10, v27
	v_and_or_b32 v28, v13, s0, v12
	v_and_or_b32 v29, v14, s1, v12
	v_and_or_b32 v30, v15, s4, v12
	v_and_or_b32 v32, v18, s5, v12
	v_add_u32_e32 v41, 0x800, v22
	ds_read2_b32 v[12:13], v25 offset0:2 offset1:112
	ds_read2_b32 v[14:15], v41 offset0:38 offset1:148
	ds_read_b32 v18, v20
	ds_read_b32 v20, v21
	;; [unrolled: 1-line block ×4, first 2 shown]
	ds_read_b32 v17, v22 offset:3960
	ds_read_b32 v34, v22
	s_mov_b32 s6, 0xffff
	v_lshl_add_u32 v28, v28, 2, 0
	s_waitcnt vmcnt(0) lgkmcnt(0)
	s_barrier
	s_movk_i32 s0, 0x64
	v_cmp_gt_u32_e64 s[0:1], s0, v0
	v_pk_mul_f16 v19, v16, v13 op_sel:[0,1]
	v_pk_mul_f16 v35, v16, v12 op_sel:[0,1]
	;; [unrolled: 1-line block ×3, first 2 shown]
	v_pk_fma_f16 v39, v16, v13, v19 op_sel:[0,0,1] op_sel_hi:[1,1,0]
	v_pk_fma_f16 v13, v16, v13, v19 op_sel:[0,0,1] op_sel_hi:[1,0,0] neg_lo:[1,0,0] neg_hi:[1,0,0]
	v_pk_fma_f16 v19, v16, v12, v35 op_sel:[0,0,1] op_sel_hi:[1,1,0]
	v_pk_fma_f16 v12, v16, v12, v35 op_sel:[0,0,1] op_sel_hi:[1,0,0] neg_lo:[1,0,0] neg_hi:[1,0,0]
	v_pk_mul_f16 v37, v16, v14 op_sel:[0,1]
	v_pk_mul_f16 v38, v16, v17 op_sel:[0,1]
	v_pk_fma_f16 v35, v16, v15, v36 op_sel:[0,0,1] op_sel_hi:[1,1,0]
	v_pk_fma_f16 v36, v16, v15, v36 op_sel:[0,0,1] op_sel_hi:[1,0,0] neg_lo:[1,0,0] neg_hi:[1,0,0]
	v_bfi_b32 v13, s6, v39, v13
	v_bfi_b32 v12, s6, v19, v12
	v_pk_fma_f16 v42, v16, v14, v37 op_sel:[0,0,1] op_sel_hi:[1,1,0]
	v_pk_fma_f16 v37, v16, v14, v37 op_sel:[0,0,1] op_sel_hi:[1,0,0] neg_lo:[1,0,0] neg_hi:[1,0,0]
	v_pk_fma_f16 v14, v16, v17, v38 op_sel:[0,0,1] op_sel_hi:[1,1,0]
	v_pk_fma_f16 v15, v16, v17, v38 op_sel:[0,0,1] op_sel_hi:[1,0,0] neg_lo:[1,0,0] neg_hi:[1,0,0]
	v_pk_add_f16 v17, v18, v13 neg_lo:[0,1] neg_hi:[0,1]
	v_pk_add_f16 v19, v21, v12 neg_lo:[0,1] neg_hi:[0,1]
	v_bfi_b32 v12, s6, v35, v36
	v_pk_fma_f16 v16, v18, 2.0, v17 op_sel_hi:[1,0,1] neg_lo:[0,0,1] neg_hi:[0,0,1]
	v_pk_fma_f16 v18, v21, 2.0, v19 op_sel_hi:[1,0,1] neg_lo:[0,0,1] neg_hi:[0,0,1]
	v_pk_add_f16 v21, v33, v12 neg_lo:[0,1] neg_hi:[0,1]
	v_bfi_b32 v12, s6, v42, v37
	v_bfi_b32 v14, s6, v14, v15
	v_pk_add_f16 v13, v34, v12 neg_lo:[0,1] neg_hi:[0,1]
	v_pk_add_f16 v15, v20, v14 neg_lo:[0,1] neg_hi:[0,1]
	v_pk_fma_f16 v12, v34, 2.0, v13 op_sel_hi:[1,0,1] neg_lo:[0,0,1] neg_hi:[0,0,1]
	v_pk_fma_f16 v14, v20, 2.0, v15 op_sel_hi:[1,0,1] neg_lo:[0,0,1] neg_hi:[0,0,1]
	;; [unrolled: 1-line block ×3, first 2 shown]
	ds_write2_b32 v28, v12, v13 offset1:2
	v_lshl_add_u32 v28, v29, 2, 0
	ds_write2_b32 v28, v20, v21 offset1:2
	v_lshl_add_u32 v28, v30, 2, 0
	;; [unrolled: 2-line block ×4, first 2 shown]
	ds_write2_b32 v28, v14, v15 offset1:2
	v_lshrrev_b32_e32 v29, 16, v14
	v_lshrrev_b32_e32 v30, 16, v15
	;; [unrolled: 1-line block ×10, first 2 shown]
	s_waitcnt lgkmcnt(0)
	s_barrier
	s_waitcnt lgkmcnt(0)
                                        ; implicit-def: $vgpr39
                                        ; implicit-def: $vgpr38
	s_and_saveexec_b64 s[4:5], s[0:1]
	s_cbranch_execz .LBB0_15
; %bb.14:
	v_add_u32_e32 v16, 0x400, v22
	ds_read2_b32 v[12:13], v22 offset1:100
	ds_read2_b32 v[20:21], v26 offset0:72 offset1:172
	ds_read2_b32 v[14:15], v25 offset0:32 offset1:132
	ds_read_b32 v38, v22 offset:4000
	ds_read2_b32 v[18:19], v16 offset0:144 offset1:244
	ds_read2_b32 v[16:17], v41 offset0:88 offset1:188
	s_waitcnt lgkmcnt(5)
	v_lshrrev_b32_e32 v28, 16, v12
	s_waitcnt lgkmcnt(3)
	v_lshrrev_b32_e32 v29, 16, v14
	v_lshrrev_b32_e32 v30, 16, v15
	s_waitcnt lgkmcnt(2)
	v_lshrrev_b32_e32 v39, 16, v38
	v_lshrrev_b32_e32 v37, 16, v13
	;; [unrolled: 1-line block ×4, first 2 shown]
	s_waitcnt lgkmcnt(1)
	v_lshrrev_b32_e32 v32, 16, v18
	v_lshrrev_b32_e32 v33, 16, v19
	s_waitcnt lgkmcnt(0)
	v_lshrrev_b32_e32 v31, 16, v16
	v_lshrrev_b32_e32 v36, 16, v17
.LBB0_15:
	s_or_b64 exec, exec, s[4:5]
	v_sub_u32_e32 v25, 0, v11
	v_sub_u32_e32 v26, 0, v27
	;; [unrolled: 1-line block ×3, first 2 shown]
	s_barrier
	s_and_saveexec_b64 s[4:5], s[0:1]
	s_cbranch_execz .LBB0_17
; %bb.16:
	v_and_b32_e32 v50, 3, v0
	v_mul_u32_u24_e32 v40, 10, v50
	v_lshlrev_b32_e32 v51, 2, v40
	global_load_dwordx4 v[40:43], v51, s[8:9] offset:8
	global_load_dwordx2 v[48:49], v51, s[8:9] offset:40
	global_load_dwordx4 v[44:47], v51, s[8:9] offset:24
	s_movk_i32 s0, 0x36a6
	s_mov_b32 s1, 0xb93d
	s_mov_b32 s6, 0xbbad
	;; [unrolled: 1-line block ×3, first 2 shown]
	s_movk_i32 s10, 0x3abb
	s_movk_i32 s11, 0x3853
	;; [unrolled: 1-line block ×3, first 2 shown]
	s_mov_b32 s13, 0xbbeb
	s_mov_b32 s14, 0xb482
	s_waitcnt vmcnt(2)
	v_mul_f16_sdwa v51, v37, v40 dst_sel:DWORD dst_unused:UNUSED_PAD src0_sel:DWORD src1_sel:WORD_1
	s_waitcnt vmcnt(1)
	v_mul_f16_sdwa v52, v39, v49 dst_sel:DWORD dst_unused:UNUSED_PAD src0_sel:DWORD src1_sel:WORD_1
	v_mul_f16_sdwa v53, v38, v49 dst_sel:DWORD dst_unused:UNUSED_PAD src0_sel:DWORD src1_sel:WORD_1
	;; [unrolled: 1-line block ×7, first 2 shown]
	s_waitcnt vmcnt(0)
	v_mul_f16_sdwa v60, v29, v47 dst_sel:DWORD dst_unused:UNUSED_PAD src0_sel:DWORD src1_sel:WORD_1
	v_mul_f16_sdwa v61, v14, v47 dst_sel:DWORD dst_unused:UNUSED_PAD src0_sel:DWORD src1_sel:WORD_1
	v_fma_f16 v38, v38, v49, v52
	v_fma_f16 v39, v39, v49, -v53
	v_fma_f16 v37, v37, v40, -v54
	v_fma_f16 v13, v13, v40, v51
	v_mul_f16_sdwa v59, v35, v42 dst_sel:DWORD dst_unused:UNUSED_PAD src0_sel:DWORD src1_sel:WORD_1
	v_mul_f16_sdwa v62, v21, v42 dst_sel:DWORD dst_unused:UNUSED_PAD src0_sel:DWORD src1_sel:WORD_1
	;; [unrolled: 1-line block ×4, first 2 shown]
	v_fma_f16 v30, v30, v48, -v57
	v_fma_f16 v15, v15, v48, v56
	v_fma_f16 v20, v20, v41, v55
	v_fma_f16 v14, v14, v47, v60
	v_fma_f16 v34, v34, v41, -v58
	v_fma_f16 v29, v29, v47, -v61
	v_sub_f16_e32 v40, v13, v38
	v_sub_f16_e32 v47, v37, v39
	v_mul_f16_sdwa v63, v32, v43 dst_sel:DWORD dst_unused:UNUSED_PAD src0_sel:DWORD src1_sel:WORD_1
	v_mul_f16_sdwa v66, v18, v43 dst_sel:DWORD dst_unused:UNUSED_PAD src0_sel:DWORD src1_sel:WORD_1
	;; [unrolled: 1-line block ×5, first 2 shown]
	v_fma_f16 v21, v21, v42, v59
	v_fma_f16 v35, v35, v42, -v62
	v_fma_f16 v17, v17, v46, v64
	v_fma_f16 v36, v36, v46, -v65
	v_add_f16_e32 v41, v37, v39
	v_sub_f16_e32 v42, v20, v15
	v_add_f16_e32 v46, v13, v38
	v_sub_f16_e32 v49, v34, v30
	v_mul_f16_e32 v59, 0xbb47, v40
	v_mul_f16_e32 v62, 0xbb47, v47
	v_mul_f16_sdwa v68, v31, v45 dst_sel:DWORD dst_unused:UNUSED_PAD src0_sel:DWORD src1_sel:WORD_1
	v_fma_f16 v18, v18, v43, v63
	v_fma_f16 v32, v32, v43, -v66
	v_fma_f16 v19, v19, v44, v67
	v_fma_f16 v31, v31, v45, -v69
	v_fma_f16 v33, v33, v44, -v70
	v_add_f16_e32 v43, v34, v30
	v_sub_f16_e32 v44, v21, v14
	v_add_f16_e32 v48, v20, v15
	v_sub_f16_e32 v52, v35, v29
	v_mul_f16_e32 v60, 0xba0c, v42
	v_mul_f16_e32 v63, 0xba0c, v49
	v_fma_f16 v67, v41, s0, v59
	v_fma_f16 v69, v46, s0, -v62
	v_fma_f16 v16, v16, v45, v68
	v_add_f16_e32 v45, v35, v29
	v_add_f16_e32 v51, v21, v14
	v_sub_f16_e32 v58, v32, v36
	v_mul_f16_e32 v61, 0x3482, v44
	v_mul_f16_e32 v64, 0x3482, v52
	v_fma_f16 v68, v43, s1, v60
	v_fma_f16 v70, v48, s1, -v63
	v_add_f16_e32 v67, v28, v67
	v_add_f16_e32 v69, v12, v69
	v_sub_f16_e32 v53, v18, v17
	v_add_f16_e32 v57, v18, v17
	v_fma_f16 v71, v45, s6, v61
	v_fma_f16 v72, v51, s6, -v64
	v_add_f16_e32 v67, v68, v67
	v_add_f16_e32 v68, v70, v69
	v_mul_f16_e32 v69, 0x3beb, v58
	v_add_f16_e32 v54, v32, v36
	v_mul_f16_e32 v65, 0x3beb, v53
	v_add_f16_e32 v67, v71, v67
	v_add_f16_e32 v68, v72, v68
	v_fma_f16 v70, v57, s7, -v69
	v_sub_f16_e32 v71, v33, v31
	v_sub_f16_e32 v55, v19, v16
	v_fma_f16 v73, v54, s7, v65
	v_add_f16_e32 v68, v70, v68
	v_add_f16_e32 v70, v19, v16
	v_mul_f16_e32 v72, 0x3853, v71
	v_add_f16_e32 v56, v33, v31
	v_mul_f16_e32 v66, 0x3853, v55
	v_add_f16_e32 v67, v73, v67
	v_fma_f16 v73, v70, s10, -v72
	v_fma_f16 v74, v56, s10, v66
	v_add_f16_e32 v68, v73, v68
	v_mul_f16_e32 v73, 0xbbeb, v40
	v_add_f16_e32 v67, v74, v67
	v_fma_f16 v74, v41, s7, v73
	v_mul_f16_e32 v75, 0x3482, v42
	v_add_f16_e32 v74, v28, v74
	v_fma_f16 v76, v43, s6, v75
	v_add_f16_e32 v74, v76, v74
	v_mul_f16_e32 v76, 0x3b47, v44
	v_fma_f16 v77, v45, s0, v76
	v_add_f16_e32 v74, v77, v74
	v_mul_f16_e32 v77, 0xb853, v53
	;; [unrolled: 3-line block ×4, first 2 shown]
	v_fma_f16 v80, v46, s7, -v79
	v_mul_f16_e32 v81, 0x3482, v49
	v_add_f16_e32 v80, v12, v80
	v_fma_f16 v82, v48, s6, -v81
	v_add_f16_e32 v80, v82, v80
	v_mul_f16_e32 v82, 0x3b47, v52
	v_fma_f16 v83, v51, s0, -v82
	v_add_f16_e32 v80, v83, v80
	v_mul_f16_e32 v83, 0xb853, v58
	;; [unrolled: 3-line block ×4, first 2 shown]
	v_fma_f16 v86, v41, s1, v85
	v_mul_f16_e32 v87, 0x3beb, v42
	v_add_f16_e32 v86, v28, v86
	v_fma_f16 v88, v43, s7, v87
	v_add_f16_e32 v86, v88, v86
	v_mul_f16_e32 v88, 0xb853, v44
	v_fma_f16 v89, v45, s10, v88
	v_add_f16_e32 v86, v89, v86
	v_mul_f16_e32 v89, 0xb482, v53
	;; [unrolled: 3-line block ×4, first 2 shown]
	v_fma_f16 v92, v46, s1, -v91
	v_mul_f16_e32 v93, 0x3beb, v49
	v_add_f16_e32 v92, v12, v92
	v_fma_f16 v94, v48, s7, -v93
	v_add_f16_e32 v92, v94, v92
	v_mul_f16_e32 v94, 0xb853, v52
	v_fma_f16 v95, v51, s10, -v94
	v_fma_f16 v59, v41, s0, -v59
	v_add_f16_e32 v92, v95, v92
	v_mul_f16_e32 v95, 0xb482, v58
	v_add_f16_e32 v59, v28, v59
	v_fma_f16 v60, v43, s1, -v60
	v_fma_f16 v96, v57, s6, -v95
	v_add_f16_e32 v59, v60, v59
	v_fma_f16 v60, v45, s6, -v61
	v_add_f16_e32 v92, v96, v92
	v_mul_f16_e32 v96, 0x3b47, v71
	v_add_f16_e32 v59, v60, v59
	v_fma_f16 v60, v54, s7, -v65
	v_fma_f16 v97, v70, s0, -v96
	v_add_f16_e32 v59, v60, v59
	v_fma_f16 v60, v56, s10, -v66
	v_add_f16_e32 v92, v97, v92
	v_mul_f16_e32 v97, 0xb482, v40
	v_add_f16_e32 v59, v60, v59
	v_fma_f16 v60, v46, s0, v62
	v_fma_f16 v98, v41, s6, v97
	v_mul_f16_e32 v99, 0x3853, v42
	v_add_f16_e32 v60, v12, v60
	v_fma_f16 v61, v48, s1, v63
	v_add_f16_e32 v98, v28, v98
	v_fma_f16 v100, v43, s10, v99
	v_add_f16_e32 v60, v61, v60
	v_fma_f16 v61, v51, s6, v64
	v_add_f16_e32 v13, v12, v13
	v_add_f16_e32 v98, v100, v98
	v_mul_f16_e32 v100, 0xba0c, v44
	v_add_f16_e32 v60, v61, v60
	v_fma_f16 v61, v57, s7, v69
	v_add_f16_e32 v13, v13, v20
	v_fma_f16 v101, v45, s1, v100
	v_fma_f16 v97, v41, s6, -v97
	v_fma_f16 v85, v41, s1, -v85
	;; [unrolled: 1-line block ×3, first 2 shown]
	v_add_f16_e32 v60, v61, v60
	v_fma_f16 v61, v70, s10, v72
	v_mul_f16_e32 v41, 0x3abb, v41
	v_add_f16_e32 v13, v13, v21
	v_add_f16_e32 v98, v101, v98
	v_mul_f16_e32 v101, 0x3b47, v53
	v_add_f16_e32 v97, v28, v97
	v_fma_f16 v99, v43, s10, -v99
	v_add_f16_e32 v85, v28, v85
	v_fma_f16 v87, v43, s7, -v87
	;; [unrolled: 2-line block ×3, first 2 shown]
	v_add_f16_e32 v60, v61, v60
	v_fma_f16 v61, v40, s11, v41
	v_mul_f16_e32 v43, 0x36a6, v43
	v_add_f16_e32 v13, v13, v18
	v_fma_f16 v102, v54, s0, v101
	v_add_f16_e32 v97, v99, v97
	v_fma_f16 v99, v45, s1, -v100
	v_add_f16_e32 v85, v87, v85
	v_fma_f16 v87, v45, s10, -v88
	;; [unrolled: 2-line block ×3, first 2 shown]
	v_add_f16_e32 v61, v28, v61
	v_fma_f16 v62, v42, s12, v43
	s_movk_i32 s11, 0x3beb
	v_mul_f16_e32 v45, 0xb08e, v45
	v_add_f16_e32 v13, v13, v19
	v_add_f16_e32 v98, v102, v98
	v_mul_f16_e32 v102, 0xbbeb, v55
	v_add_f16_e32 v97, v99, v97
	v_fma_f16 v99, v54, s0, -v101
	v_add_f16_e32 v85, v87, v85
	v_fma_f16 v87, v54, s6, -v89
	;; [unrolled: 2-line block ×3, first 2 shown]
	v_add_f16_e32 v61, v62, v61
	v_fma_f16 v62, v44, s11, v45
	v_mul_f16_e32 v54, 0xb93d, v54
	s_movk_i32 s11, 0x3a0c
	v_add_f16_e32 v13, v13, v16
	v_fma_f16 v103, v56, s7, v102
	v_add_f16_e32 v97, v99, v97
	v_fma_f16 v99, v56, s7, -v102
	v_add_f16_e32 v85, v87, v85
	v_fma_f16 v87, v56, s0, -v90
	v_add_f16_e32 v73, v75, v73
	v_fma_f16 v75, v56, s1, -v78
	v_add_f16_e32 v61, v62, v61
	v_fma_f16 v62, v53, s11, v54
	s_movk_i32 s11, 0x3482
	v_mul_f16_e32 v56, 0xbbad, v56
	v_add_f16_e32 v13, v13, v17
	v_add_f16_e32 v61, v62, v61
	v_fma_f16 v62, v55, s11, v56
	v_add_f16_e32 v13, v13, v14
	s_mov_b32 s11, 0xb853
	v_add_f16_e32 v13, v13, v15
	v_fma_f16 v15, v40, s11, v41
	s_mov_b32 s11, 0xbb47
	v_add_f16_e32 v98, v103, v98
	v_mul_f16_e32 v103, 0xb482, v47
	v_add_f16_e32 v15, v28, v15
	v_fma_f16 v16, v42, s11, v43
	v_fma_f16 v104, v46, s6, -v103
	v_mul_f16_e32 v105, 0x3853, v49
	s_mov_b32 s12, 0xba0c
	v_add_f16_e32 v15, v16, v15
	v_fma_f16 v16, v44, s13, v45
	v_add_f16_e32 v104, v12, v104
	v_fma_f16 v106, v48, s10, -v105
	v_mul_f16_e32 v47, 0xb853, v47
	v_add_f16_e32 v14, v28, v37
	v_add_f16_e32 v15, v16, v15
	v_fma_f16 v16, v53, s12, v54
	v_add_f16_e32 v104, v106, v104
	v_mul_f16_e32 v106, 0xba0c, v52
	v_add_f16_e32 v61, v62, v61
	v_fma_f16 v62, v46, s10, v47
	v_mul_f16_e32 v49, 0xbb47, v49
	v_add_f16_e32 v14, v14, v34
	v_add_f16_e32 v15, v16, v15
	v_fma_f16 v16, v55, s14, v56
	v_fma_f16 v107, v51, s1, -v106
	v_add_f16_e32 v97, v99, v97
	v_fma_f16 v99, v46, s6, v103
	v_add_f16_e32 v85, v87, v85
	v_fma_f16 v87, v46, s1, v91
	;; [unrolled: 2-line block ×4, first 2 shown]
	v_mul_f16_e32 v52, 0xbbeb, v52
	v_add_f16_e32 v14, v14, v35
	v_add_f16_e32 v15, v16, v15
	v_fma_f16 v16, v46, s10, -v47
	v_add_f16_e32 v104, v107, v104
	v_mul_f16_e32 v107, 0x3b47, v58
	v_add_f16_e32 v99, v12, v99
	v_add_f16_e32 v87, v12, v87
	;; [unrolled: 1-line block ×4, first 2 shown]
	v_fma_f16 v63, v51, s7, v52
	v_mul_f16_e32 v58, 0xba0c, v58
	v_add_f16_e32 v14, v14, v32
	v_add_f16_e32 v12, v12, v16
	v_fma_f16 v16, v48, s0, -v49
	v_add_f16_e32 v62, v63, v62
	v_fma_f16 v63, v57, s1, v58
	v_add_f16_e32 v14, v14, v33
	v_add_f16_e32 v12, v16, v12
	v_fma_f16 v16, v51, s7, -v52
	v_add_f16_e32 v62, v63, v62
	v_mul_f16_e32 v63, 0xb482, v71
	v_add_f16_e32 v14, v14, v31
	v_add_f16_e32 v12, v16, v12
	v_fma_f16 v16, v57, s1, -v58
	v_fma_f16 v76, v48, s6, v81
	v_add_f16_e32 v14, v14, v36
	v_add_f16_e32 v12, v16, v12
	v_fma_f16 v16, v70, s6, -v63
	v_fma_f16 v100, v48, s10, v105
	v_fma_f16 v88, v48, s7, v93
	v_add_f16_e32 v75, v76, v75
	v_fma_f16 v76, v51, s0, v82
	v_add_f16_e32 v14, v14, v29
	v_add_f16_e32 v12, v16, v12
	v_lshrrev_b32_e32 v16, 2, v0
	v_fma_f16 v108, v57, s0, -v107
	v_add_f16_e32 v99, v100, v99
	v_fma_f16 v100, v51, s1, v106
	v_add_f16_e32 v87, v88, v87
	v_fma_f16 v88, v51, s10, v94
	;; [unrolled: 2-line block ×3, first 2 shown]
	v_fma_f16 v64, v70, s6, v63
	v_add_f16_e32 v14, v14, v30
	v_mul_u32_u24_e32 v16, 44, v16
	v_add_f16_e32 v104, v108, v104
	v_mul_f16_e32 v108, 0xbbeb, v71
	v_add_f16_e32 v99, v100, v99
	v_fma_f16 v100, v57, s0, v107
	v_add_f16_e32 v87, v88, v87
	v_fma_f16 v88, v57, s6, v95
	;; [unrolled: 2-line block ×3, first 2 shown]
	v_add_f16_e32 v62, v64, v62
	v_add_f16_e32 v13, v13, v38
	;; [unrolled: 1-line block ×3, first 2 shown]
	v_or_b32_e32 v16, v16, v50
	v_add_f16_e32 v99, v100, v99
	v_fma_f16 v100, v70, s7, v108
	v_add_f16_e32 v87, v88, v87
	v_fma_f16 v88, v70, s0, v96
	v_add_f16_e32 v75, v76, v75
	v_lshl_add_u32 v16, v16, 2, 0
	v_pack_b32_f16 v13, v13, v14
	v_pack_b32_f16 v14, v62, v61
	v_fma_f16 v109, v70, s7, -v108
	v_add_f16_e32 v99, v100, v99
	v_add_f16_e32 v87, v88, v87
	ds_write2_b32 v16, v13, v14 offset1:4
	v_pack_b32_f16 v13, v60, v59
	v_pack_b32_f16 v14, v75, v73
	v_add_f16_e32 v104, v109, v104
	ds_write2_b32 v16, v13, v14 offset0:8 offset1:12
	v_pack_b32_f16 v13, v87, v85
	v_pack_b32_f16 v14, v99, v97
	ds_write2_b32 v16, v13, v14 offset0:16 offset1:20
	v_pack_b32_f16 v13, v104, v98
	v_pack_b32_f16 v14, v92, v86
	;; [unrolled: 3-line block ×3, first 2 shown]
	v_pack_b32_f16 v12, v12, v15
	ds_write2_b32 v16, v13, v14 offset0:32 offset1:36
	ds_write_b32 v16, v12 offset:160
.LBB0_17:
	s_or_b64 exec, exec, s[4:5]
	s_movk_i32 s0, 0xbb
	v_mul_lo_u16_sdwa v12, v0, s0 dst_sel:DWORD dst_unused:UNUSED_PAD src0_sel:BYTE_0 src1_sel:DWORD
	v_lshrrev_b16_e32 v12, 13, v12
	v_mul_lo_u16_e32 v13, 44, v12
	v_sub_u16_e32 v32, v0, v13
	v_mov_b32_e32 v13, 4
	v_lshlrev_b32_sdwa v14, v13, v32 dst_sel:DWORD dst_unused:UNUSED_PAD src0_sel:DWORD src1_sel:BYTE_0
	s_waitcnt lgkmcnt(0)
	s_barrier
	global_load_dwordx4 v[16:19], v14, s[8:9] offset:168
	v_mul_lo_u16_sdwa v14, v4, s0 dst_sel:DWORD dst_unused:UNUSED_PAD src0_sel:BYTE_0 src1_sel:DWORD
	v_lshrrev_b16_e32 v33, 13, v14
	v_mul_lo_u16_e32 v14, 44, v33
	v_sub_u16_e32 v34, v4, v14
	v_lshlrev_b32_sdwa v13, v13, v34 dst_sel:DWORD dst_unused:UNUSED_PAD src0_sel:DWORD src1_sel:BYTE_0
	global_load_dwordx4 v[28:31], v13, s[8:9] offset:168
	v_add_u32_e32 v35, 0xa00, v22
	v_add_u32_e32 v14, v10, v26
	;; [unrolled: 1-line block ×6, first 2 shown]
	ds_read2_b32 v[20:21], v35 offset0:20 offset1:130
	ds_read2_b32 v[24:25], v36 offset0:112 offset1:222
	ds_read_b32 v37, v22
	ds_read_b32 v38, v14
	;; [unrolled: 1-line block ×4, first 2 shown]
	ds_read2_b32 v[26:27], v1 offset0:10 offset1:230
	s_waitcnt lgkmcnt(6)
	v_lshrrev_b32_e32 v47, 16, v20
	v_lshrrev_b32_e32 v43, 16, v21
	s_waitcnt lgkmcnt(2)
	v_lshrrev_b32_e32 v46, 16, v39
	v_lshrrev_b32_e32 v45, 16, v38
	;; [unrolled: 1-line block ×4, first 2 shown]
	s_mov_b32 s5, 0xbb9c
	s_movk_i32 s7, 0x3b9c
	s_mov_b32 s4, 0xb8b4
	s_waitcnt lgkmcnt(0)
	v_lshrrev_b32_e32 v42, 16, v27
	s_movk_i32 s10, 0x38b4
	s_movk_i32 s6, 0x34f2
	v_lshrrev_b32_e32 v49, 16, v26
	v_lshrrev_b32_e32 v41, 16, v37
	v_mov_b32_e32 v10, 2
	v_lshlrev_b32_sdwa v32, v10, v32 dst_sel:DWORD dst_unused:UNUSED_PAD src0_sel:DWORD src1_sel:BYTE_0
	v_lshlrev_b32_sdwa v10, v10, v34 dst_sel:DWORD dst_unused:UNUSED_PAD src0_sel:DWORD src1_sel:BYTE_0
	v_lshrrev_b32_e32 v34, 16, v40
	v_mul_u32_u24_e32 v12, 0x370, v12
	v_add3_u32 v12, 0, v12, v32
	s_waitcnt vmcnt(0)
	s_barrier
	v_mul_f16_sdwa v52, v17, v46 dst_sel:DWORD dst_unused:UNUSED_PAD src0_sel:WORD_1 src1_sel:DWORD
	v_mul_f16_sdwa v54, v18, v47 dst_sel:DWORD dst_unused:UNUSED_PAD src0_sel:WORD_1 src1_sel:DWORD
	;; [unrolled: 1-line block ×8, first 2 shown]
	v_mul_f16_sdwa v62, v43, v30 dst_sel:DWORD dst_unused:UNUSED_PAD src0_sel:DWORD src1_sel:WORD_1
	v_mul_f16_sdwa v63, v21, v30 dst_sel:DWORD dst_unused:UNUSED_PAD src0_sel:DWORD src1_sel:WORD_1
	v_fma_f16 v39, v17, v39, v52
	v_fma_f16 v20, v18, v20, v54
	v_mul_f16_sdwa v64, v44, v31 dst_sel:DWORD dst_unused:UNUSED_PAD src0_sel:DWORD src1_sel:WORD_1
	v_mul_f16_sdwa v65, v25, v31 dst_sel:DWORD dst_unused:UNUSED_PAD src0_sel:DWORD src1_sel:WORD_1
	v_fma_f16 v38, v16, v38, v50
	v_fma_f16 v16, v16, v45, -v51
	v_fma_f16 v24, v19, v24, v56
	v_fma_f16 v19, v19, v48, -v57
	v_fma_f16 v21, v21, v30, v62
	v_fma_f16 v30, v43, v30, -v63
	v_add_f16_e32 v43, v39, v20
	v_fma_f16 v17, v17, v46, -v53
	v_fma_f16 v18, v18, v47, -v55
	v_fma_f16 v25, v25, v31, v64
	v_fma_f16 v31, v44, v31, -v65
	v_sub_f16_e32 v44, v16, v19
	v_sub_f16_e32 v46, v38, v39
	;; [unrolled: 1-line block ×3, first 2 shown]
	v_fma_f16 v43, v43, -0.5, v37
	v_sub_f16_e32 v45, v17, v18
	v_add_f16_e32 v46, v46, v47
	v_fma_f16 v47, v44, s5, v43
	v_fma_f16 v43, v44, s7, v43
	v_mul_f16_sdwa v60, v42, v29 dst_sel:DWORD dst_unused:UNUSED_PAD src0_sel:DWORD src1_sel:WORD_1
	v_mul_f16_sdwa v61, v27, v29 dst_sel:DWORD dst_unused:UNUSED_PAD src0_sel:DWORD src1_sel:WORD_1
	v_fma_f16 v47, v45, s4, v47
	v_fma_f16 v43, v45, s10, v43
	;; [unrolled: 1-line block ×3, first 2 shown]
	v_fma_f16 v29, v42, v29, -v61
	v_add_f16_e32 v42, v37, v38
	v_fma_f16 v47, v46, s6, v47
	v_fma_f16 v43, v46, s6, v43
	v_add_f16_e32 v46, v38, v24
	v_mul_f16_sdwa v58, v28, v49 dst_sel:DWORD dst_unused:UNUSED_PAD src0_sel:WORD_1 src1_sel:DWORD
	v_mul_f16_sdwa v59, v28, v26 dst_sel:DWORD dst_unused:UNUSED_PAD src0_sel:WORD_1 src1_sel:DWORD
	v_add_f16_e32 v42, v42, v39
	v_fma_f16 v37, v46, -0.5, v37
	v_fma_f16 v26, v28, v26, v58
	v_fma_f16 v28, v28, v49, -v59
	v_add_f16_e32 v42, v42, v20
	v_fma_f16 v46, v45, s7, v37
	v_sub_f16_e32 v48, v39, v38
	v_sub_f16_e32 v49, v20, v24
	v_fma_f16 v37, v45, s5, v37
	v_add_f16_e32 v45, v17, v18
	v_add_f16_e32 v42, v42, v24
	v_fma_f16 v46, v44, s4, v46
	v_add_f16_e32 v48, v48, v49
	v_fma_f16 v37, v44, s10, v37
	v_fma_f16 v45, v45, -0.5, v41
	v_sub_f16_e32 v24, v38, v24
	v_fma_f16 v46, v48, s6, v46
	v_fma_f16 v37, v48, s6, v37
	;; [unrolled: 1-line block ×3, first 2 shown]
	v_sub_f16_e32 v20, v39, v20
	v_sub_f16_e32 v39, v16, v17
	;; [unrolled: 1-line block ×3, first 2 shown]
	v_fma_f16 v45, v24, s5, v45
	v_add_f16_e32 v44, v41, v16
	v_fma_f16 v38, v20, s10, v38
	v_add_f16_e32 v39, v39, v48
	v_fma_f16 v45, v20, s4, v45
	v_add_f16_e32 v44, v44, v17
	v_fma_f16 v38, v39, s6, v38
	v_fma_f16 v39, v39, s6, v45
	v_add_f16_e32 v45, v16, v19
	v_add_f16_e32 v44, v44, v18
	v_fma_f16 v41, v45, -0.5, v41
	v_add_f16_e32 v44, v44, v19
	v_fma_f16 v45, v20, s5, v41
	v_sub_f16_e32 v16, v17, v16
	v_sub_f16_e32 v17, v18, v19
	v_add_f16_e32 v19, v27, v21
	v_fma_f16 v45, v24, s10, v45
	v_add_f16_e32 v16, v16, v17
	v_fma_f16 v18, v20, s7, v41
	v_fma_f16 v19, v19, -0.5, v40
	v_sub_f16_e32 v20, v28, v31
	v_fma_f16 v17, v16, s6, v45
	v_fma_f16 v18, v24, s4, v18
	;; [unrolled: 1-line block ×3, first 2 shown]
	v_sub_f16_e32 v41, v29, v30
	v_sub_f16_e32 v45, v26, v27
	;; [unrolled: 1-line block ×3, first 2 shown]
	v_fma_f16 v19, v20, s7, v19
	v_fma_f16 v24, v41, s4, v24
	v_add_f16_e32 v45, v45, v48
	v_fma_f16 v19, v41, s10, v19
	v_fma_f16 v16, v16, s6, v18
	v_add_f16_e32 v18, v40, v26
	;; [unrolled: 3-line block ×3, first 2 shown]
	v_add_f16_e32 v18, v18, v27
	v_fma_f16 v40, v45, -0.5, v40
	v_add_f16_e32 v18, v18, v21
	v_fma_f16 v45, v41, s7, v40
	v_sub_f16_e32 v48, v27, v26
	v_sub_f16_e32 v49, v21, v25
	v_fma_f16 v40, v41, s5, v40
	v_add_f16_e32 v41, v29, v30
	v_add_f16_e32 v18, v18, v25
	v_fma_f16 v45, v20, s4, v45
	v_add_f16_e32 v48, v48, v49
	v_fma_f16 v20, v20, s10, v40
	v_fma_f16 v41, v41, -0.5, v34
	v_sub_f16_e32 v25, v26, v25
	v_fma_f16 v45, v48, s6, v45
	v_fma_f16 v20, v48, s6, v20
	;; [unrolled: 1-line block ×3, first 2 shown]
	v_sub_f16_e32 v21, v27, v21
	v_sub_f16_e32 v27, v28, v29
	;; [unrolled: 1-line block ×3, first 2 shown]
	v_fma_f16 v41, v25, s5, v41
	v_fma_f16 v26, v21, s10, v26
	v_add_f16_e32 v27, v27, v48
	v_fma_f16 v41, v21, s4, v41
	v_fma_f16 v26, v27, s6, v26
	;; [unrolled: 1-line block ×3, first 2 shown]
	v_add_f16_e32 v41, v28, v31
	v_add_f16_e32 v40, v34, v28
	v_fma_f16 v34, v41, -0.5, v34
	v_add_f16_e32 v40, v40, v29
	v_fma_f16 v41, v21, s5, v34
	v_sub_f16_e32 v28, v29, v28
	v_sub_f16_e32 v29, v30, v31
	v_fma_f16 v21, v21, s7, v34
	v_fma_f16 v41, v25, s10, v41
	v_add_f16_e32 v28, v28, v29
	v_fma_f16 v21, v25, s4, v21
	v_pack_b32_f16 v17, v46, v17
	v_pack_b32_f16 v16, v37, v16
	v_add_f16_e32 v40, v40, v30
	v_fma_f16 v29, v28, s6, v41
	v_fma_f16 v21, v28, s6, v21
	v_pack_b32_f16 v25, v42, v44
	v_pack_b32_f16 v28, v47, v38
	ds_write2_b32 v12, v17, v16 offset0:88 offset1:132
	v_pack_b32_f16 v16, v43, v39
	v_add_f16_e32 v40, v40, v31
	ds_write2_b32 v12, v25, v28 offset1:44
	ds_write_b32 v12, v16 offset:704
	v_mul_u32_u24_e32 v12, 0x370, v33
	v_add3_u32 v10, 0, v12, v10
	v_pack_b32_f16 v12, v18, v40
	v_pack_b32_f16 v16, v24, v26
	ds_write2_b32 v10, v12, v16 offset1:44
	v_pack_b32_f16 v12, v45, v29
	v_pack_b32_f16 v16, v20, v21
	ds_write2_b32 v10, v12, v16 offset0:88 offset1:132
	v_pack_b32_f16 v12, v19, v27
	ds_write_b32 v10, v12 offset:704
	v_mov_b32_e32 v10, 0
	v_lshlrev_b64 v[16:17], 2, v[9:10]
	v_mov_b32_e32 v20, s9
	v_add_co_u32_e64 v16, s[0:1], s8, v16
	v_addc_co_u32_e64 v17, s[0:1], v20, v17, s[0:1]
	s_waitcnt lgkmcnt(0)
	s_barrier
	global_load_dwordx4 v[16:19], v[16:17], off offset:872
	v_mov_b32_e32 v12, v10
	v_lshlrev_b64 v[11:12], 2, v[11:12]
	v_add_co_u32_e64 v11, s[0:1], s8, v11
	v_addc_co_u32_e64 v12, s[0:1], v20, v12, s[0:1]
	global_load_dwordx4 v[24:27], v[11:12], off offset:872
	ds_read_b32 v30, v22
	ds_read_b32 v31, v14
	;; [unrolled: 1-line block ×4, first 2 shown]
	ds_read2_b32 v[11:12], v1 offset0:10 offset1:230
	ds_read2_b32 v[20:21], v35 offset0:20 offset1:130
	;; [unrolled: 1-line block ×3, first 2 shown]
	s_waitcnt lgkmcnt(5)
	v_lshrrev_b32_e32 v38, 16, v31
	v_lshrrev_b32_e32 v1, 16, v30
	s_waitcnt lgkmcnt(2)
	v_lshrrev_b32_e32 v35, 16, v12
	s_waitcnt lgkmcnt(1)
	;; [unrolled: 2-line block ×3, first 2 shown]
	v_lshrrev_b32_e32 v37, 16, v29
	v_lshrrev_b32_e32 v34, 16, v33
	s_waitcnt vmcnt(0)
	s_barrier
	v_cmp_ne_u32_e64 s[0:1], 0, v0
	v_mul_f16_sdwa v39, v16, v38 dst_sel:DWORD dst_unused:UNUSED_PAD src0_sel:WORD_1 src1_sel:DWORD
	v_fma_f16 v39, v16, v31, v39
	v_mul_f16_sdwa v31, v16, v31 dst_sel:DWORD dst_unused:UNUSED_PAD src0_sel:WORD_1 src1_sel:DWORD
	v_fma_f16 v16, v16, v38, -v31
	v_lshrrev_b32_e32 v31, 16, v32
	v_mul_f16_sdwa v38, v17, v31 dst_sel:DWORD dst_unused:UNUSED_PAD src0_sel:WORD_1 src1_sel:DWORD
	v_fma_f16 v38, v17, v32, v38
	v_mul_f16_sdwa v32, v17, v32 dst_sel:DWORD dst_unused:UNUSED_PAD src0_sel:WORD_1 src1_sel:DWORD
	v_fma_f16 v17, v17, v31, -v32
	v_lshrrev_b32_e32 v31, 16, v20
	;; [unrolled: 5-line block ×4, first 2 shown]
	v_mul_f16_sdwa v28, v24, v20 dst_sel:DWORD dst_unused:UNUSED_PAD src0_sel:WORD_1 src1_sel:DWORD
	v_fma_f16 v28, v24, v11, v28
	v_mul_f16_sdwa v11, v24, v11 dst_sel:DWORD dst_unused:UNUSED_PAD src0_sel:WORD_1 src1_sel:DWORD
	v_fma_f16 v11, v24, v20, -v11
	v_mul_f16_sdwa v20, v35, v25 dst_sel:DWORD dst_unused:UNUSED_PAD src0_sel:DWORD src1_sel:WORD_1
	v_fma_f16 v20, v12, v25, v20
	v_mul_f16_sdwa v12, v12, v25 dst_sel:DWORD dst_unused:UNUSED_PAD src0_sel:DWORD src1_sel:WORD_1
	v_mul_f16_sdwa v24, v36, v26 dst_sel:DWORD dst_unused:UNUSED_PAD src0_sel:DWORD src1_sel:WORD_1
	v_fma_f16 v12, v35, v25, -v12
	v_fma_f16 v24, v21, v26, v24
	v_mul_f16_sdwa v21, v21, v26 dst_sel:DWORD dst_unused:UNUSED_PAD src0_sel:DWORD src1_sel:WORD_1
	v_mul_f16_sdwa v25, v37, v27 dst_sel:DWORD dst_unused:UNUSED_PAD src0_sel:DWORD src1_sel:WORD_1
	v_fma_f16 v21, v36, v26, -v21
	v_fma_f16 v25, v29, v27, v25
	v_mul_f16_sdwa v26, v29, v27 dst_sel:DWORD dst_unused:UNUSED_PAD src0_sel:DWORD src1_sel:WORD_1
	v_add_f16_e32 v29, v38, v32
	v_fma_f16 v29, v29, -0.5, v30
	v_sub_f16_e32 v35, v16, v19
	v_fma_f16 v26, v37, v27, -v26
	v_fma_f16 v36, v35, s5, v29
	v_sub_f16_e32 v37, v17, v18
	v_sub_f16_e32 v40, v39, v38
	;; [unrolled: 1-line block ×3, first 2 shown]
	v_fma_f16 v29, v35, s7, v29
	v_fma_f16 v36, v37, s4, v36
	v_add_f16_e32 v40, v40, v41
	v_fma_f16 v29, v37, s10, v29
	v_add_f16_e32 v27, v30, v39
	v_fma_f16 v36, v40, s6, v36
	v_fma_f16 v29, v40, s6, v29
	v_add_f16_e32 v40, v39, v31
	v_add_f16_e32 v27, v27, v38
	v_fma_f16 v30, v40, -0.5, v30
	v_add_f16_e32 v27, v27, v32
	v_fma_f16 v40, v37, s7, v30
	v_fma_f16 v30, v37, s5, v30
	v_add_f16_e32 v37, v17, v18
	v_add_f16_e32 v27, v27, v31
	v_sub_f16_e32 v41, v38, v39
	v_sub_f16_e32 v42, v32, v31
	v_fma_f16 v37, v37, -0.5, v1
	v_sub_f16_e32 v31, v39, v31
	v_fma_f16 v40, v35, s4, v40
	v_add_f16_e32 v41, v41, v42
	v_fma_f16 v30, v35, s10, v30
	v_fma_f16 v39, v31, s7, v37
	v_sub_f16_e32 v32, v38, v32
	v_fma_f16 v40, v41, s6, v40
	v_fma_f16 v30, v41, s6, v30
	;; [unrolled: 1-line block ×3, first 2 shown]
	v_sub_f16_e32 v39, v16, v17
	v_sub_f16_e32 v41, v19, v18
	v_fma_f16 v37, v31, s5, v37
	v_add_f16_e32 v39, v39, v41
	v_fma_f16 v37, v32, s4, v37
	v_add_f16_e32 v35, v1, v16
	v_fma_f16 v38, v39, s6, v38
	v_fma_f16 v37, v39, s6, v37
	v_add_f16_e32 v39, v16, v19
	v_add_f16_e32 v35, v35, v17
	v_fma_f16 v1, v39, -0.5, v1
	v_add_f16_e32 v35, v35, v18
	v_fma_f16 v39, v32, s5, v1
	v_sub_f16_e32 v16, v17, v16
	v_sub_f16_e32 v17, v18, v19
	v_add_f16_e32 v18, v20, v24
	v_add_f16_e32 v35, v35, v19
	v_fma_f16 v39, v31, s10, v39
	v_add_f16_e32 v16, v16, v17
	v_fma_f16 v1, v32, s7, v1
	v_fma_f16 v18, v18, -0.5, v33
	v_sub_f16_e32 v19, v11, v26
	v_fma_f16 v17, v16, s6, v39
	v_fma_f16 v1, v31, s4, v1
	v_fma_f16 v31, v19, s5, v18
	v_sub_f16_e32 v32, v12, v21
	v_sub_f16_e32 v39, v28, v20
	;; [unrolled: 1-line block ×3, first 2 shown]
	v_fma_f16 v18, v19, s7, v18
	v_fma_f16 v31, v32, s4, v31
	v_add_f16_e32 v39, v39, v41
	v_fma_f16 v18, v32, s10, v18
	v_fma_f16 v1, v16, s6, v1
	v_add_f16_e32 v16, v33, v28
	;; [unrolled: 3-line block ×3, first 2 shown]
	v_add_f16_e32 v16, v16, v20
	v_fma_f16 v33, v39, -0.5, v33
	v_add_f16_e32 v16, v16, v24
	v_fma_f16 v39, v32, s7, v33
	v_fma_f16 v32, v32, s5, v33
	v_add_f16_e32 v33, v12, v21
	v_add_f16_e32 v16, v16, v25
	v_sub_f16_e32 v41, v20, v28
	v_sub_f16_e32 v42, v24, v25
	v_fma_f16 v33, v33, -0.5, v34
	v_sub_f16_e32 v25, v28, v25
	v_fma_f16 v39, v19, s4, v39
	v_add_f16_e32 v41, v41, v42
	v_fma_f16 v19, v19, s10, v32
	v_fma_f16 v28, v25, s7, v33
	v_sub_f16_e32 v20, v20, v24
	v_fma_f16 v39, v41, s6, v39
	v_fma_f16 v19, v41, s6, v19
	;; [unrolled: 1-line block ×3, first 2 shown]
	v_sub_f16_e32 v28, v11, v12
	v_sub_f16_e32 v41, v26, v21
	v_fma_f16 v33, v25, s5, v33
	v_add_f16_e32 v28, v28, v41
	v_fma_f16 v33, v20, s4, v33
	v_fma_f16 v24, v28, s6, v24
	;; [unrolled: 1-line block ×3, first 2 shown]
	v_add_f16_e32 v33, v11, v26
	v_add_f16_e32 v32, v34, v11
	v_fma_f16 v33, v33, -0.5, v34
	v_add_f16_e32 v32, v32, v12
	v_fma_f16 v34, v20, s5, v33
	v_sub_f16_e32 v11, v12, v11
	v_sub_f16_e32 v12, v21, v26
	v_fma_f16 v20, v20, s7, v33
	v_fma_f16 v34, v25, s10, v34
	v_add_f16_e32 v11, v11, v12
	v_fma_f16 v20, v25, s4, v20
	v_add_f16_e32 v32, v32, v21
	v_fma_f16 v12, v11, s6, v34
	v_fma_f16 v11, v11, s6, v20
	v_pack_b32_f16 v20, v27, v35
	v_pack_b32_f16 v21, v36, v38
	ds_write2_b32 v22, v20, v21 offset1:220
	v_pack_b32_f16 v17, v40, v17
	v_pack_b32_f16 v1, v30, v1
	v_add_u32_e32 v20, 0x680, v22
	v_add_f16_e32 v32, v32, v26
	ds_write2_b32 v20, v17, v1 offset0:24 offset1:244
	v_pack_b32_f16 v1, v29, v37
	ds_write_b32 v22, v1 offset:3520
	v_pack_b32_f16 v1, v16, v32
	v_pack_b32_f16 v16, v31, v24
	ds_write2_b32 v15, v1, v16 offset1:220
	v_pack_b32_f16 v1, v39, v12
	v_pack_b32_f16 v11, v19, v11
	v_add_u32_e32 v12, 0x680, v15
	ds_write2_b32 v12, v1, v11 offset0:24 offset1:244
	v_pack_b32_f16 v1, v18, v28
	ds_write_b32 v15, v1 offset:3520
	s_waitcnt lgkmcnt(0)
	s_barrier
	ds_read_b32 v17, v22
	s_add_u32 s6, s8, 0x1128
	s_addc_u32 s7, s9, 0
	v_sub_u32_e32 v11, 0, v9
                                        ; implicit-def: $vgpr16
                                        ; implicit-def: $vgpr12
	s_and_saveexec_b64 s[4:5], s[0:1]
	s_xor_b64 s[4:5], exec, s[4:5]
	s_cbranch_execz .LBB0_19
; %bb.18:
	v_mov_b32_e32 v1, v10
	v_lshlrev_b64 v[9:10], 2, v[0:1]
	v_mov_b32_e32 v1, s7
	v_add_co_u32_e64 v9, s[0:1], s6, v9
	v_addc_co_u32_e64 v10, s[0:1], v1, v10, s[0:1]
	global_load_dword v1, v[9:10], off
	ds_read_b32 v9, v11 offset:4400
	s_waitcnt lgkmcnt(0)
	v_add_f16_e32 v10, v9, v17
	v_add_f16_sdwa v12, v9, v17 dst_sel:DWORD dst_unused:UNUSED_PAD src0_sel:WORD_1 src1_sel:WORD_1
	v_sub_f16_e32 v16, v17, v9
	v_sub_f16_sdwa v9, v17, v9 dst_sel:DWORD dst_unused:UNUSED_PAD src0_sel:WORD_1 src1_sel:WORD_1
	v_mul_f16_e32 v17, 0.5, v12
	v_mul_f16_e32 v12, 0.5, v16
	;; [unrolled: 1-line block ×3, first 2 shown]
	s_waitcnt vmcnt(0)
	v_lshrrev_b32_e32 v16, 16, v1
	v_mul_f16_e32 v18, v16, v12
	v_fma_f16 v19, v17, v16, v9
	v_fma_f16 v9, v17, v16, -v9
	v_fma_f16 v16, v10, 0.5, v18
	v_fma_f16 v19, -v1, v12, v19
	v_fma_f16 v10, v10, 0.5, -v18
	v_fma_f16 v9, -v1, v12, v9
	v_fma_f16 v12, v1, v17, v16
	ds_write_b16 v22, v19 offset:2
	v_fma_f16 v16, -v1, v17, v10
	ds_write_b16 v11, v9 offset:4402
                                        ; implicit-def: $vgpr17
.LBB0_19:
	s_or_saveexec_b64 s[0:1], s[4:5]
	v_sub_u32_e32 v1, 0, v5
	s_xor_b64 exec, exec, s[0:1]
	s_cbranch_execz .LBB0_21
; %bb.20:
	v_mov_b32_e32 v5, 0
	ds_write_b16 v22, v5 offset:2
	ds_write_b16 v11, v5 offset:4402
	ds_read_u16 v9, v5 offset:2202
	s_waitcnt lgkmcnt(3)
	v_add_f16_sdwa v12, v17, v17 dst_sel:DWORD dst_unused:UNUSED_PAD src0_sel:WORD_1 src1_sel:DWORD
	v_sub_f16_sdwa v16, v17, v17 dst_sel:DWORD dst_unused:UNUSED_PAD src0_sel:DWORD src1_sel:WORD_1
	s_waitcnt lgkmcnt(0)
	v_xor_b32_e32 v9, 0x8000, v9
	ds_write_b16 v5, v9 offset:2202
.LBB0_21:
	s_or_b64 exec, exec, s[0:1]
	v_mov_b32_e32 v5, 0
	v_lshlrev_b64 v[9:10], 2, v[4:5]
	v_mov_b32_e32 v4, s7
	v_add_co_u32_e64 v9, s[0:1], s6, v9
	v_addc_co_u32_e64 v10, s[0:1], v4, v10, s[0:1]
	global_load_dword v4, v[9:10], off
	v_mov_b32_e32 v9, v5
	v_lshlrev_b64 v[8:9], 2, v[8:9]
	v_mov_b32_e32 v10, s7
	v_add_co_u32_e64 v8, s[0:1], s6, v8
	v_addc_co_u32_e64 v9, s[0:1], v10, v9, s[0:1]
	global_load_dword v9, v[8:9], off
	v_mov_b32_e32 v8, v5
	v_lshlrev_b64 v[7:8], 2, v[7:8]
	v_add_u32_e32 v1, v23, v1
	v_add_co_u32_e64 v7, s[0:1], s6, v7
	v_addc_co_u32_e64 v8, s[0:1], v10, v8, s[0:1]
	global_load_dword v8, v[7:8], off
	v_mov_b32_e32 v7, v5
	v_lshlrev_b64 v[6:7], 2, v[6:7]
	ds_write_b16 v22, v12
	ds_write_b16 v11, v16 offset:4400
	v_add_co_u32_e64 v6, s[0:1], s6, v6
	v_addc_co_u32_e64 v7, s[0:1], v10, v7, s[0:1]
	ds_read_b32 v12, v15
	ds_read_b32 v16, v11 offset:3960
	global_load_dword v6, v[6:7], off
	s_mov_b32 s0, 0xffff
	s_waitcnt lgkmcnt(0)
	v_pk_add_f16 v7, v12, v16 neg_lo:[0,1] neg_hi:[0,1]
	v_pk_add_f16 v10, v12, v16
	v_bfi_b32 v12, s0, v7, v10
	v_bfi_b32 v7, s0, v10, v7
	v_pk_mul_f16 v10, v12, 0.5 op_sel_hi:[1,0]
	v_pk_mul_f16 v7, v7, 0.5 op_sel_hi:[1,0]
	s_waitcnt vmcnt(3)
	v_pk_fma_f16 v12, v4, v10, v7 op_sel:[1,0,0]
	v_pk_mul_f16 v16, v4, v10 op_sel_hi:[0,1]
	v_pk_fma_f16 v17, v4, v10, v7 op_sel:[1,0,0] neg_lo:[1,0,0] neg_hi:[1,0,0]
	v_pk_fma_f16 v4, v4, v10, v7 op_sel:[1,0,0] neg_lo:[0,0,1] neg_hi:[0,0,1]
	v_pk_add_f16 v7, v12, v16 op_sel:[0,1] op_sel_hi:[1,0]
	v_pk_add_f16 v10, v12, v16 op_sel:[0,1] op_sel_hi:[1,0] neg_lo:[0,1] neg_hi:[0,1]
	v_pk_add_f16 v12, v17, v16 op_sel:[0,1] op_sel_hi:[1,0] neg_lo:[0,1] neg_hi:[0,1]
	v_pk_add_f16 v4, v4, v16 op_sel:[0,1] op_sel_hi:[1,0] neg_lo:[0,1] neg_hi:[0,1]
	v_bfi_b32 v7, s0, v7, v10
	v_bfi_b32 v4, s0, v12, v4
	ds_write_b32 v15, v7
	ds_write_b32 v11, v4 offset:3960
	ds_read_b32 v4, v14
	ds_read_b32 v7, v11 offset:3520
	s_waitcnt lgkmcnt(0)
	v_pk_add_f16 v10, v4, v7 neg_lo:[0,1] neg_hi:[0,1]
	v_pk_add_f16 v4, v4, v7
	v_bfi_b32 v7, s0, v10, v4
	v_bfi_b32 v4, s0, v4, v10
	v_pk_mul_f16 v7, v7, 0.5 op_sel_hi:[1,0]
	v_pk_mul_f16 v4, v4, 0.5 op_sel_hi:[1,0]
	s_waitcnt vmcnt(2)
	v_pk_fma_f16 v10, v9, v7, v4 op_sel:[1,0,0]
	v_pk_mul_f16 v12, v9, v7 op_sel_hi:[0,1]
	v_pk_fma_f16 v15, v9, v7, v4 op_sel:[1,0,0] neg_lo:[1,0,0] neg_hi:[1,0,0]
	v_pk_fma_f16 v4, v9, v7, v4 op_sel:[1,0,0] neg_lo:[0,0,1] neg_hi:[0,0,1]
	v_pk_add_f16 v7, v10, v12 op_sel:[0,1] op_sel_hi:[1,0]
	v_pk_add_f16 v9, v10, v12 op_sel:[0,1] op_sel_hi:[1,0] neg_lo:[0,1] neg_hi:[0,1]
	v_pk_add_f16 v10, v15, v12 op_sel:[0,1] op_sel_hi:[1,0] neg_lo:[0,1] neg_hi:[0,1]
	v_pk_add_f16 v4, v4, v12 op_sel:[0,1] op_sel_hi:[1,0] neg_lo:[0,1] neg_hi:[0,1]
	v_bfi_b32 v7, s0, v7, v9
	v_bfi_b32 v4, s0, v10, v4
	ds_write_b32 v14, v7
	ds_write_b32 v11, v4 offset:3520
	ds_read_b32 v4, v1
	ds_read_b32 v7, v11 offset:3080
	;; [unrolled: 22-line block ×3, first 2 shown]
	s_waitcnt lgkmcnt(0)
	v_pk_add_f16 v7, v1, v4 neg_lo:[0,1] neg_hi:[0,1]
	v_pk_add_f16 v1, v1, v4
	v_bfi_b32 v4, s0, v7, v1
	v_bfi_b32 v1, s0, v1, v7
	v_pk_mul_f16 v4, v4, 0.5 op_sel_hi:[1,0]
	v_pk_mul_f16 v1, v1, 0.5 op_sel_hi:[1,0]
	s_waitcnt vmcnt(0)
	v_pk_fma_f16 v7, v6, v4, v1 op_sel:[1,0,0]
	v_pk_mul_f16 v8, v6, v4 op_sel_hi:[0,1]
	v_pk_fma_f16 v9, v6, v4, v1 op_sel:[1,0,0] neg_lo:[1,0,0] neg_hi:[1,0,0]
	v_pk_fma_f16 v1, v6, v4, v1 op_sel:[1,0,0] neg_lo:[0,0,1] neg_hi:[0,0,1]
	v_pk_add_f16 v4, v7, v8 op_sel:[0,1] op_sel_hi:[1,0]
	v_pk_add_f16 v6, v7, v8 op_sel:[0,1] op_sel_hi:[1,0] neg_lo:[0,1] neg_hi:[0,1]
	v_pk_add_f16 v7, v9, v8 op_sel:[0,1] op_sel_hi:[1,0] neg_lo:[0,1] neg_hi:[0,1]
	;; [unrolled: 1-line block ×3, first 2 shown]
	v_bfi_b32 v4, s0, v4, v6
	v_bfi_b32 v1, s0, v7, v1
	ds_write_b32 v13, v4
	ds_write_b32 v11, v1 offset:2640
	s_waitcnt lgkmcnt(0)
	s_barrier
	s_and_saveexec_b64 s[0:1], vcc
	s_cbranch_execz .LBB0_24
; %bb.22:
	v_mov_b32_e32 v1, v5
	ds_read2_b32 v[5:6], v22 offset1:110
	v_mov_b32_e32 v7, s3
	v_add_co_u32_e32 v4, vcc, s2, v2
	v_addc_co_u32_e32 v2, vcc, v7, v3, vcc
	v_lshlrev_b64 v[7:8], 2, v[0:1]
	v_add_u32_e32 v1, 0x200, v22
	ds_read2_b32 v[9:10], v1 offset0:92 offset1:202
	v_add_co_u32_e32 v7, vcc, v4, v7
	v_addc_co_u32_e32 v8, vcc, v2, v8, vcc
	s_waitcnt lgkmcnt(1)
	global_store_dword v[7:8], v5, off
	global_store_dword v[7:8], v6, off offset:440
	s_waitcnt lgkmcnt(0)
	global_store_dword v[7:8], v9, off offset:880
	global_store_dword v[7:8], v10, off offset:1320
	v_add_u32_e32 v1, 0x600, v22
	ds_read2_b32 v[5:6], v1 offset0:56 offset1:166
	v_add_u32_e32 v1, 0xa00, v22
	ds_read2_b32 v[9:10], v1 offset0:20 offset1:130
	v_add_u32_e32 v1, 0xc00, v22
	s_movk_i32 s0, 0x6d
	ds_read2_b32 v[11:12], v1 offset0:112 offset1:222
	v_cmp_eq_u32_e32 vcc, s0, v0
	s_waitcnt lgkmcnt(2)
	global_store_dword v[7:8], v5, off offset:1760
	global_store_dword v[7:8], v6, off offset:2200
	s_waitcnt lgkmcnt(1)
	global_store_dword v[7:8], v9, off offset:2640
	global_store_dword v[7:8], v10, off offset:3080
	;; [unrolled: 3-line block ×3, first 2 shown]
	s_and_b64 exec, exec, vcc
	s_cbranch_execz .LBB0_24
; %bb.23:
	v_mov_b32_e32 v0, 0
	ds_read_b32 v3, v0 offset:4400
	v_add_co_u32_e32 v0, vcc, 0x1000, v4
	v_addc_co_u32_e32 v1, vcc, 0, v2, vcc
	s_waitcnt lgkmcnt(0)
	global_store_dword v[0:1], v3, off offset:304
.LBB0_24:
	s_endpgm
	.section	.rodata,"a",@progbits
	.p2align	6, 0x0
	.amdhsa_kernel fft_rtc_back_len1100_factors_2_2_11_5_5_wgs_110_tpt_110_half_ip_CI_unitstride_sbrr_R2C_dirReg
		.amdhsa_group_segment_fixed_size 0
		.amdhsa_private_segment_fixed_size 0
		.amdhsa_kernarg_size 88
		.amdhsa_user_sgpr_count 6
		.amdhsa_user_sgpr_private_segment_buffer 1
		.amdhsa_user_sgpr_dispatch_ptr 0
		.amdhsa_user_sgpr_queue_ptr 0
		.amdhsa_user_sgpr_kernarg_segment_ptr 1
		.amdhsa_user_sgpr_dispatch_id 0
		.amdhsa_user_sgpr_flat_scratch_init 0
		.amdhsa_user_sgpr_private_segment_size 0
		.amdhsa_uses_dynamic_stack 0
		.amdhsa_system_sgpr_private_segment_wavefront_offset 0
		.amdhsa_system_sgpr_workgroup_id_x 1
		.amdhsa_system_sgpr_workgroup_id_y 0
		.amdhsa_system_sgpr_workgroup_id_z 0
		.amdhsa_system_sgpr_workgroup_info 0
		.amdhsa_system_vgpr_workitem_id 0
		.amdhsa_next_free_vgpr 110
		.amdhsa_next_free_sgpr 22
		.amdhsa_reserve_vcc 1
		.amdhsa_reserve_flat_scratch 0
		.amdhsa_float_round_mode_32 0
		.amdhsa_float_round_mode_16_64 0
		.amdhsa_float_denorm_mode_32 3
		.amdhsa_float_denorm_mode_16_64 3
		.amdhsa_dx10_clamp 1
		.amdhsa_ieee_mode 1
		.amdhsa_fp16_overflow 0
		.amdhsa_exception_fp_ieee_invalid_op 0
		.amdhsa_exception_fp_denorm_src 0
		.amdhsa_exception_fp_ieee_div_zero 0
		.amdhsa_exception_fp_ieee_overflow 0
		.amdhsa_exception_fp_ieee_underflow 0
		.amdhsa_exception_fp_ieee_inexact 0
		.amdhsa_exception_int_div_zero 0
	.end_amdhsa_kernel
	.text
.Lfunc_end0:
	.size	fft_rtc_back_len1100_factors_2_2_11_5_5_wgs_110_tpt_110_half_ip_CI_unitstride_sbrr_R2C_dirReg, .Lfunc_end0-fft_rtc_back_len1100_factors_2_2_11_5_5_wgs_110_tpt_110_half_ip_CI_unitstride_sbrr_R2C_dirReg
                                        ; -- End function
	.section	.AMDGPU.csdata,"",@progbits
; Kernel info:
; codeLenInByte = 8936
; NumSgprs: 26
; NumVgprs: 110
; ScratchSize: 0
; MemoryBound: 0
; FloatMode: 240
; IeeeMode: 1
; LDSByteSize: 0 bytes/workgroup (compile time only)
; SGPRBlocks: 3
; VGPRBlocks: 27
; NumSGPRsForWavesPerEU: 26
; NumVGPRsForWavesPerEU: 110
; Occupancy: 2
; WaveLimiterHint : 1
; COMPUTE_PGM_RSRC2:SCRATCH_EN: 0
; COMPUTE_PGM_RSRC2:USER_SGPR: 6
; COMPUTE_PGM_RSRC2:TRAP_HANDLER: 0
; COMPUTE_PGM_RSRC2:TGID_X_EN: 1
; COMPUTE_PGM_RSRC2:TGID_Y_EN: 0
; COMPUTE_PGM_RSRC2:TGID_Z_EN: 0
; COMPUTE_PGM_RSRC2:TIDIG_COMP_CNT: 0
	.type	__hip_cuid_7f07315af95bbb4d,@object ; @__hip_cuid_7f07315af95bbb4d
	.section	.bss,"aw",@nobits
	.globl	__hip_cuid_7f07315af95bbb4d
__hip_cuid_7f07315af95bbb4d:
	.byte	0                               ; 0x0
	.size	__hip_cuid_7f07315af95bbb4d, 1

	.ident	"AMD clang version 19.0.0git (https://github.com/RadeonOpenCompute/llvm-project roc-6.4.0 25133 c7fe45cf4b819c5991fe208aaa96edf142730f1d)"
	.section	".note.GNU-stack","",@progbits
	.addrsig
	.addrsig_sym __hip_cuid_7f07315af95bbb4d
	.amdgpu_metadata
---
amdhsa.kernels:
  - .args:
      - .actual_access:  read_only
        .address_space:  global
        .offset:         0
        .size:           8
        .value_kind:     global_buffer
      - .offset:         8
        .size:           8
        .value_kind:     by_value
      - .actual_access:  read_only
        .address_space:  global
        .offset:         16
        .size:           8
        .value_kind:     global_buffer
      - .actual_access:  read_only
        .address_space:  global
        .offset:         24
        .size:           8
        .value_kind:     global_buffer
      - .offset:         32
        .size:           8
        .value_kind:     by_value
      - .actual_access:  read_only
        .address_space:  global
        .offset:         40
        .size:           8
        .value_kind:     global_buffer
      - .actual_access:  read_only
        .address_space:  global
        .offset:         48
        .size:           8
        .value_kind:     global_buffer
      - .offset:         56
        .size:           4
        .value_kind:     by_value
      - .actual_access:  read_only
        .address_space:  global
        .offset:         64
        .size:           8
        .value_kind:     global_buffer
      - .actual_access:  read_only
        .address_space:  global
        .offset:         72
        .size:           8
        .value_kind:     global_buffer
      - .address_space:  global
        .offset:         80
        .size:           8
        .value_kind:     global_buffer
    .group_segment_fixed_size: 0
    .kernarg_segment_align: 8
    .kernarg_segment_size: 88
    .language:       OpenCL C
    .language_version:
      - 2
      - 0
    .max_flat_workgroup_size: 110
    .name:           fft_rtc_back_len1100_factors_2_2_11_5_5_wgs_110_tpt_110_half_ip_CI_unitstride_sbrr_R2C_dirReg
    .private_segment_fixed_size: 0
    .sgpr_count:     26
    .sgpr_spill_count: 0
    .symbol:         fft_rtc_back_len1100_factors_2_2_11_5_5_wgs_110_tpt_110_half_ip_CI_unitstride_sbrr_R2C_dirReg.kd
    .uniform_work_group_size: 1
    .uses_dynamic_stack: false
    .vgpr_count:     110
    .vgpr_spill_count: 0
    .wavefront_size: 64
amdhsa.target:   amdgcn-amd-amdhsa--gfx906
amdhsa.version:
  - 1
  - 2
...

	.end_amdgpu_metadata
